;; amdgpu-corpus repo=llvm/llvm-project kind=harvested arch=n/a opt=n/a
// NOTE: Assertions have been autogenerated by utils/update_mc_test_checks.py UTC_ARGS: --version 6
// RUN: llvm-mc -triple=amdgcn -mcpu=gfx1310 -show-encoding %s | FileCheck --check-prefixes=GFX13 %s
// RUN: llvm-mc -triple=amdgcn -mcpu=gfx1310 -show-encoding %s | %extract-encodings | llvm-mc -triple=amdgcn -mcpu=gfx1310 -disassemble -show-encoding | FileCheck --strict-whitespace --check-prefixes=GFX13 %s

s_add_u32 s0, s0, s0
// GFX13: s_add_co_u32 s0, s0, s0                 ; encoding: [0x00,0x00,0x00,0x80]

s_sub_u32 s0, s0, s0
// GFX13: s_sub_co_u32 s0, s0, s0                 ; encoding: [0x00,0x00,0x80,0x80]

s_add_i32 s0, s0, s0
// GFX13: s_add_co_i32 s0, s0, s0                 ; encoding: [0x00,0x00,0x00,0x81]

s_sub_i32 s0, s0, s0
// GFX13: s_sub_co_i32 s0, s0, s0                 ; encoding: [0x00,0x00,0x80,0x81]

s_addc_u32 s0, s0, s0
// GFX13: s_add_co_ci_u32 s0, s0, s0              ; encoding: [0x00,0x00,0x00,0x82]

s_subb_u32 s0, s0, s0
// GFX13: s_sub_co_ci_u32 s0, s0, s0              ; encoding: [0x00,0x00,0x80,0x82]

s_andn2_b32 s0, s0, s0
// GFX13: s_and_not1_b32 s0, s0, s0               ; encoding: [0x00,0x00,0x00,0x8a]

s_andn2_b64 s[0:1], s[0:1], s[0:1]
// GFX13: s_and_not1_b64 s[0:1], s[0:1], s[0:1]   ; encoding: [0x00,0x00,0x80,0x8a]

s_orn2_b32 s0, s0, s0
// GFX13: s_or_not1_b32 s0, s0, s0                ; encoding: [0x00,0x00,0x00,0x8b]

s_orn2_b64 s[0:1], s[0:1], s[0:1]
// GFX13: s_or_not1_b64 s[0:1], s[0:1], s[0:1]    ; encoding: [0x00,0x00,0x80,0x8b]

s_min_f32 s0, s0, s0
// GFX13: s_min_num_f32 s0, s0, s0                ; encoding: [0x00,0x00,0x00,0xa1]

s_max_f32 s0, s0, s0
// GFX13: s_max_num_f32 s0, s0, s0                ; encoding: [0x00,0x00,0x80,0xa1]

s_min_f16 s0, s0, s0
// GFX13: s_min_num_f16 s0, s0, s0                ; encoding: [0x00,0x00,0x80,0xa5]

s_max_f16 s0, s0, s0
// GFX13: s_max_num_f16 s0, s0, s0                ; encoding: [0x00,0x00,0x00,0xa6]

s_add_u64 s[0:1], s[0:1], s[0:1]
// GFX13: s_add_nc_u64 s[0:1], s[0:1], s[0:1]     ; encoding: [0x00,0x00,0x80,0xa9]

s_sub_u64 s[0:1], s[0:1], s[0:1]
// GFX13: s_sub_nc_u64 s[0:1], s[0:1], s[0:1]     ; encoding: [0x00,0x00,0x00,0xaa]
